;; amdgpu-corpus repo=ROCm/rocFFT kind=compiled arch=gfx950 opt=O3
	.text
	.amdgcn_target "amdgcn-amd-amdhsa--gfx950"
	.amdhsa_code_object_version 6
	.protected	fft_rtc_fwd_len165_factors_11_5_3_wgs_55_tpt_11_sp_ip_CI_unitstride_sbrr_dirReg ; -- Begin function fft_rtc_fwd_len165_factors_11_5_3_wgs_55_tpt_11_sp_ip_CI_unitstride_sbrr_dirReg
	.globl	fft_rtc_fwd_len165_factors_11_5_3_wgs_55_tpt_11_sp_ip_CI_unitstride_sbrr_dirReg
	.p2align	8
	.type	fft_rtc_fwd_len165_factors_11_5_3_wgs_55_tpt_11_sp_ip_CI_unitstride_sbrr_dirReg,@function
fft_rtc_fwd_len165_factors_11_5_3_wgs_55_tpt_11_sp_ip_CI_unitstride_sbrr_dirReg: ; @fft_rtc_fwd_len165_factors_11_5_3_wgs_55_tpt_11_sp_ip_CI_unitstride_sbrr_dirReg
; %bb.0:
	s_load_dwordx2 s[8:9], s[0:1], 0x50
	s_load_dwordx4 s[4:7], s[0:1], 0x0
	s_load_dwordx2 s[10:11], s[0:1], 0x18
	v_mul_u32_u24_e32 v1, 0x1746, v0
	v_lshrrev_b32_e32 v2, 16, v1
	v_mad_u64_u32 v[2:3], s[2:3], s2, 5, v[2:3]
	v_mov_b32_e32 v6, 0
	v_mov_b32_e32 v3, v6
	s_waitcnt lgkmcnt(0)
	v_cmp_lt_u64_e64 s[2:3], s[6:7], 2
	s_and_b64 vcc, exec, s[2:3]
	v_mov_b64_e32 v[4:5], 0
	v_mov_b64_e32 v[10:11], v[2:3]
	s_cbranch_vccnz .LBB0_8
; %bb.1:
	s_load_dwordx2 s[2:3], s[0:1], 0x10
	s_add_u32 s12, s10, 8
	s_addc_u32 s13, s11, 0
	s_mov_b64 s[14:15], 1
	v_mov_b64_e32 v[4:5], 0
	s_waitcnt lgkmcnt(0)
	s_add_u32 s16, s2, 8
	s_addc_u32 s17, s3, 0
	v_mov_b64_e32 v[8:9], v[2:3]
.LBB0_2:                                ; =>This Inner Loop Header: Depth=1
	s_load_dwordx2 s[18:19], s[16:17], 0x0
                                        ; implicit-def: $vgpr10_vgpr11
	s_waitcnt lgkmcnt(0)
	v_or_b32_e32 v7, s19, v9
	v_cmp_ne_u64_e32 vcc, 0, v[6:7]
	s_and_saveexec_b64 s[2:3], vcc
	s_xor_b64 s[20:21], exec, s[2:3]
	s_cbranch_execz .LBB0_4
; %bb.3:                                ;   in Loop: Header=BB0_2 Depth=1
	v_cvt_f32_u32_e32 v1, s18
	v_cvt_f32_u32_e32 v3, s19
	s_sub_u32 s2, 0, s18
	s_subb_u32 s3, 0, s19
	v_fmac_f32_e32 v1, 0x4f800000, v3
	v_rcp_f32_e32 v1, v1
	s_nop 0
	v_mul_f32_e32 v1, 0x5f7ffffc, v1
	v_mul_f32_e32 v3, 0x2f800000, v1
	v_trunc_f32_e32 v3, v3
	v_fmac_f32_e32 v1, 0xcf800000, v3
	v_cvt_u32_f32_e32 v3, v3
	v_cvt_u32_f32_e32 v1, v1
	v_mul_lo_u32 v7, s2, v3
	v_mul_hi_u32 v10, s2, v1
	v_mul_lo_u32 v11, s3, v1
	v_add_u32_e32 v7, v10, v7
	v_mul_lo_u32 v14, s2, v1
	v_add_u32_e32 v7, v7, v11
	v_mul_hi_u32 v10, v1, v14
	v_mul_hi_u32 v13, v1, v7
	v_mul_lo_u32 v12, v1, v7
	v_mov_b32_e32 v11, v6
	v_lshl_add_u64 v[10:11], v[10:11], 0, v[12:13]
	v_mul_hi_u32 v13, v3, v14
	v_mul_lo_u32 v14, v3, v14
	v_add_co_u32_e32 v10, vcc, v10, v14
	v_mul_hi_u32 v12, v3, v7
	s_nop 0
	v_addc_co_u32_e32 v10, vcc, v11, v13, vcc
	v_mov_b32_e32 v11, v6
	s_nop 0
	v_addc_co_u32_e32 v13, vcc, 0, v12, vcc
	v_mul_lo_u32 v12, v3, v7
	v_lshl_add_u64 v[10:11], v[10:11], 0, v[12:13]
	v_add_co_u32_e32 v1, vcc, v1, v10
	v_mul_hi_u32 v10, s2, v1
	s_nop 0
	v_addc_co_u32_e32 v3, vcc, v3, v11, vcc
	v_mul_lo_u32 v7, s2, v3
	v_add_u32_e32 v7, v10, v7
	v_mul_lo_u32 v10, s3, v1
	v_add_u32_e32 v7, v7, v10
	v_mul_lo_u32 v12, s2, v1
	v_mul_hi_u32 v15, v3, v12
	v_mul_lo_u32 v16, v3, v12
	v_mul_hi_u32 v11, v1, v7
	;; [unrolled: 2-line block ×3, first 2 shown]
	v_mov_b32_e32 v13, v6
	v_lshl_add_u64 v[10:11], v[12:13], 0, v[10:11]
	v_add_co_u32_e32 v10, vcc, v10, v16
	v_mul_hi_u32 v14, v3, v7
	s_nop 0
	v_addc_co_u32_e32 v10, vcc, v11, v15, vcc
	v_mul_lo_u32 v12, v3, v7
	s_nop 0
	v_addc_co_u32_e32 v13, vcc, 0, v14, vcc
	v_mov_b32_e32 v11, v6
	v_lshl_add_u64 v[10:11], v[10:11], 0, v[12:13]
	v_add_co_u32_e32 v1, vcc, v1, v10
	v_mul_hi_u32 v12, v8, v1
	s_nop 0
	v_addc_co_u32_e32 v3, vcc, v3, v11, vcc
	v_mad_u64_u32 v[10:11], s[2:3], v8, v3, 0
	v_mov_b32_e32 v13, v6
	v_lshl_add_u64 v[10:11], v[12:13], 0, v[10:11]
	v_mad_u64_u32 v[14:15], s[2:3], v9, v1, 0
	v_add_co_u32_e32 v1, vcc, v10, v14
	v_mad_u64_u32 v[12:13], s[2:3], v9, v3, 0
	s_nop 0
	v_addc_co_u32_e32 v10, vcc, v11, v15, vcc
	v_mov_b32_e32 v11, v6
	s_nop 0
	v_addc_co_u32_e32 v13, vcc, 0, v13, vcc
	v_lshl_add_u64 v[10:11], v[10:11], 0, v[12:13]
	v_mul_lo_u32 v1, s19, v10
	v_mul_lo_u32 v3, s18, v11
	v_mad_u64_u32 v[12:13], s[2:3], s18, v10, 0
	v_add3_u32 v1, v13, v3, v1
	v_sub_u32_e32 v3, v9, v1
	v_mov_b32_e32 v7, s19
	v_sub_co_u32_e32 v16, vcc, v8, v12
	v_lshl_add_u64 v[14:15], v[10:11], 0, 1
	s_nop 0
	v_subb_co_u32_e64 v3, s[2:3], v3, v7, vcc
	v_subrev_co_u32_e64 v7, s[2:3], s18, v16
	v_subb_co_u32_e32 v1, vcc, v9, v1, vcc
	s_nop 0
	v_subbrev_co_u32_e64 v3, s[2:3], 0, v3, s[2:3]
	v_cmp_le_u32_e64 s[2:3], s19, v3
	v_cmp_le_u32_e32 vcc, s19, v1
	s_nop 0
	v_cndmask_b32_e64 v12, 0, -1, s[2:3]
	v_cmp_le_u32_e64 s[2:3], s18, v7
	s_nop 1
	v_cndmask_b32_e64 v7, 0, -1, s[2:3]
	v_cmp_eq_u32_e64 s[2:3], s19, v3
	s_nop 1
	v_cndmask_b32_e64 v3, v12, v7, s[2:3]
	v_lshl_add_u64 v[12:13], v[10:11], 0, 2
	v_cmp_ne_u32_e64 s[2:3], 0, v3
	v_cndmask_b32_e64 v7, 0, -1, vcc
	v_cmp_le_u32_e32 vcc, s18, v16
	v_cndmask_b32_e64 v3, v15, v13, s[2:3]
	s_nop 0
	v_cndmask_b32_e64 v13, 0, -1, vcc
	v_cmp_eq_u32_e32 vcc, s19, v1
	s_nop 1
	v_cndmask_b32_e32 v1, v7, v13, vcc
	v_cmp_ne_u32_e32 vcc, 0, v1
	v_cndmask_b32_e64 v1, v14, v12, s[2:3]
	s_nop 0
	v_cndmask_b32_e32 v11, v11, v3, vcc
	v_cndmask_b32_e32 v10, v10, v1, vcc
.LBB0_4:                                ;   in Loop: Header=BB0_2 Depth=1
	s_andn2_saveexec_b64 s[2:3], s[20:21]
	s_cbranch_execz .LBB0_6
; %bb.5:                                ;   in Loop: Header=BB0_2 Depth=1
	v_cvt_f32_u32_e32 v1, s18
	s_sub_i32 s20, 0, s18
	v_mov_b32_e32 v11, v6
	v_rcp_iflag_f32_e32 v1, v1
	s_nop 0
	v_mul_f32_e32 v1, 0x4f7ffffe, v1
	v_cvt_u32_f32_e32 v1, v1
	v_mul_lo_u32 v3, s20, v1
	v_mul_hi_u32 v3, v1, v3
	v_add_u32_e32 v1, v1, v3
	v_mul_hi_u32 v1, v8, v1
	v_mul_lo_u32 v3, v1, s18
	v_sub_u32_e32 v3, v8, v3
	v_add_u32_e32 v7, 1, v1
	v_subrev_u32_e32 v10, s18, v3
	v_cmp_le_u32_e32 vcc, s18, v3
	s_nop 1
	v_cndmask_b32_e32 v3, v3, v10, vcc
	v_cndmask_b32_e32 v1, v1, v7, vcc
	v_add_u32_e32 v7, 1, v1
	v_cmp_le_u32_e32 vcc, s18, v3
	s_nop 1
	v_cndmask_b32_e32 v10, v1, v7, vcc
.LBB0_6:                                ;   in Loop: Header=BB0_2 Depth=1
	s_or_b64 exec, exec, s[2:3]
	v_mad_u64_u32 v[12:13], s[2:3], v10, s18, 0
	s_load_dwordx2 s[2:3], s[12:13], 0x0
	s_add_u32 s14, s14, 1
	v_mul_lo_u32 v1, v11, s18
	v_mul_lo_u32 v3, v10, s19
	s_addc_u32 s15, s15, 0
	v_add3_u32 v1, v13, v3, v1
	v_sub_co_u32_e32 v3, vcc, v8, v12
	s_add_u32 s12, s12, 8
	s_nop 0
	v_subb_co_u32_e32 v1, vcc, v9, v1, vcc
	s_addc_u32 s13, s13, 0
	v_mov_b64_e32 v[8:9], s[6:7]
	s_waitcnt lgkmcnt(0)
	v_mul_lo_u32 v1, s2, v1
	v_mul_lo_u32 v7, s3, v3
	v_mad_u64_u32 v[4:5], s[2:3], s2, v3, v[4:5]
	s_add_u32 s16, s16, 8
	v_cmp_ge_u64_e32 vcc, s[14:15], v[8:9]
	v_add3_u32 v5, v7, v5, v1
	s_addc_u32 s17, s17, 0
	s_cbranch_vccnz .LBB0_8
; %bb.7:                                ;   in Loop: Header=BB0_2 Depth=1
	v_mov_b64_e32 v[8:9], v[10:11]
	s_branch .LBB0_2
.LBB0_8:
	s_lshl_b64 s[2:3], s[6:7], 3
	s_add_u32 s2, s10, s2
	s_addc_u32 s3, s11, s3
	s_load_dwordx2 s[6:7], s[2:3], 0x0
	s_load_dwordx2 s[10:11], s[0:1], 0x20
	s_mov_b32 s2, 0x1745d175
	s_waitcnt lgkmcnt(0)
	v_mad_u64_u32 v[4:5], s[0:1], s6, v10, v[4:5]
	v_mul_lo_u32 v1, s6, v11
	v_mul_lo_u32 v3, s7, v10
	s_mov_b32 s0, 0xcccccccd
	v_add3_u32 v5, v3, v5, v1
	v_mul_hi_u32 v1, v2, s0
	v_lshrrev_b32_e32 v1, 2, v1
	v_lshl_add_u32 v1, v1, 2, v1
	v_sub_u32_e32 v1, v2, v1
	v_mul_hi_u32 v2, v0, s2
	v_mul_u32_u24_e32 v2, 11, v2
	v_sub_u32_e32 v40, v0, v2
	v_cmp_gt_u64_e32 vcc, s[10:11], v[10:11]
	v_cmp_le_u64_e64 s[0:1], s[10:11], v[10:11]
	v_add_u32_e32 v85, 11, v40
	s_and_saveexec_b64 s[2:3], s[0:1]
	s_xor_b64 s[0:1], exec, s[2:3]
; %bb.9:
	v_add_u32_e32 v85, 11, v40
; %bb.10:
	s_or_saveexec_b64 s[0:1], s[0:1]
	v_mul_u32_u24_e32 v0, 0xa5, v1
	v_lshl_add_u64 v[42:43], v[4:5], 3, s[8:9]
	v_lshlrev_b32_e32 v86, 3, v0
	v_lshlrev_b32_e32 v0, 3, v40
	s_xor_b64 exec, exec, s[0:1]
	s_cbranch_execz .LBB0_12
; %bb.11:
	v_mov_b32_e32 v41, 0
	v_lshl_add_u64 v[2:3], v[40:41], 3, v[42:43]
	global_load_dwordx2 v[4:5], v[2:3], off
	global_load_dwordx2 v[6:7], v[2:3], off offset:88
	global_load_dwordx2 v[8:9], v[2:3], off offset:176
	;; [unrolled: 1-line block ×14, first 2 shown]
	v_add3_u32 v1, 0, v86, v0
	s_waitcnt vmcnt(13)
	ds_write2_b64 v1, v[4:5], v[6:7] offset1:11
	s_waitcnt vmcnt(11)
	ds_write2_b64 v1, v[8:9], v[10:11] offset0:22 offset1:33
	s_waitcnt vmcnt(9)
	ds_write2_b64 v1, v[12:13], v[14:15] offset0:44 offset1:55
	;; [unrolled: 2-line block ×6, first 2 shown]
	s_waitcnt vmcnt(0)
	ds_write_b64 v1, v[32:33] offset:1232
.LBB0_12:
	s_or_b64 exec, exec, s[0:1]
	v_add_u32_e32 v87, 0, v86
	v_add_u32_e32 v84, v87, v0
	;; [unrolled: 1-line block ×4, first 2 shown]
	s_waitcnt lgkmcnt(0)
	; wave barrier
	s_waitcnt lgkmcnt(0)
	ds_read2_b64 v[0:3], v41 offset0:11 offset1:15
	ds_read2_b64 v[4:7], v41 offset0:146 offset1:150
	;; [unrolled: 1-line block ×6, first 2 shown]
	s_mov_b32 s2, 0xbf0a6770
	s_waitcnt lgkmcnt(4)
	v_pk_add_f32 v[66:67], v[6:7], v[2:3]
	v_pk_add_f32 v[24:25], v[2:3], v[6:7] neg_lo:[0,1] neg_hi:[0,1]
	s_mov_b32 s3, 0x3f575c64
	ds_read_b64 v[46:47], v84
	ds_read_b64 v[52:53], v41 offset:1288
	s_mov_b32 s6, 0xbf68dda4
	s_waitcnt lgkmcnt(4)
	v_pk_add_f32 v[64:65], v[10:11], v[18:19]
	v_pk_add_f32 v[26:27], v[18:19], v[10:11] neg_lo:[0,1] neg_hi:[0,1]
	v_mov_b32_e32 v45, v67
	v_mov_b32_e32 v67, v24
	s_mov_b32 s14, s3
	s_mov_b32 s15, s2
	;; [unrolled: 1-line block ×3, first 2 shown]
	v_mov_b32_e32 v44, v25
	v_pk_mul_f32 v[48:49], v[66:67], s[14:15]
	v_mov_b32_e32 v55, v65
	v_mov_b32_e32 v65, v26
	s_mov_b32 s30, s7
	s_mov_b32 s31, s6
	v_pk_fma_f32 v[24:25], v[44:45], s[2:3], v[48:49] neg_lo:[1,0,0] neg_hi:[1,0,0]
	v_pk_fma_f32 v[50:51], v[44:45], s[2:3], v[48:49]
	v_mov_b32_e32 v54, v27
	v_pk_mul_f32 v[60:61], v[64:65], s[30:31]
	v_mov_b32_e32 v25, v51
	v_pk_fma_f32 v[26:27], v[54:55], s[6:7], v[60:61] neg_lo:[1,0,0] neg_hi:[1,0,0]
	v_pk_fma_f32 v[58:59], v[54:55], s[6:7], v[60:61]
	s_waitcnt lgkmcnt(2)
	v_pk_add_f32 v[56:57], v[14:15], v[22:23]
	v_pk_add_f32 v[28:29], v[22:23], v[14:15] neg_lo:[0,1] neg_hi:[0,1]
	s_waitcnt lgkmcnt(1)
	v_pk_add_f32 v[24:25], v[46:47], v[24:25]
	v_mov_b32_e32 v27, v59
	s_mov_b32 s8, 0xbf7d64f0
	v_pk_add_f32 v[32:33], v[26:27], v[24:25]
	v_mov_b32_e32 v62, v29
	v_mov_b32_e32 v63, v57
	s_mov_b32 s9, 0xbe11bafb
	v_mov_b32_e32 v57, v28
	ds_read2_b64 v[28:31], v41 offset0:56 offset1:60
	ds_read2_b64 v[24:27], v41 offset0:101 offset1:105
	s_mov_b32 s22, s9
	s_mov_b32 s23, s8
	v_pk_mul_f32 v[68:69], v[56:57], s[22:23]
	s_mov_b32 s10, 0xbf4178ce
	v_pk_fma_f32 v[34:35], v[62:63], s[8:9], v[68:69] neg_lo:[1,0,0] neg_hi:[1,0,0]
	v_pk_fma_f32 v[70:71], v[62:63], s[8:9], v[68:69]
	s_waitcnt lgkmcnt(0)
	v_pk_add_f32 v[88:89], v[26:27], v[30:31]
	v_mov_b32_e32 v35, v71
	v_pk_add_f32 v[78:79], v[34:35], v[32:33]
	v_pk_add_f32 v[32:33], v[30:31], v[26:27] neg_lo:[0,1] neg_hi:[0,1]
	v_mov_b32_e32 v73, v89
	v_mov_b32_e32 v72, v33
	;; [unrolled: 1-line block ×3, first 2 shown]
	s_mov_b32 s11, 0xbf27a4f4
	ds_read2_b64 v[32:35], v41 offset0:71 offset1:75
	ds_read2_b64 v[36:39], v41 offset0:86 offset1:90
	s_mov_b32 s24, s11
	s_mov_b32 s25, s10
	v_pk_add_f32 v[2:3], v[46:47], v[2:3]
	v_pk_mul_f32 v[74:75], v[88:89], s[24:25]
	v_pk_add_f32 v[2:3], v[2:3], v[18:19]
	v_pk_fma_f32 v[80:81], v[72:73], s[10:11], v[74:75] neg_lo:[1,0,0] neg_hi:[1,0,0]
	v_pk_fma_f32 v[76:77], v[72:73], s[10:11], v[74:75]
	v_pk_add_f32 v[2:3], v[2:3], v[22:23]
	v_mov_b32_e32 v81, v77
	s_mov_b32 s12, 0xbe903f40
	v_pk_add_f32 v[2:3], v[2:3], v[30:31]
	v_pk_add_f32 v[90:91], v[80:81], v[78:79]
	s_waitcnt lgkmcnt(0)
	v_pk_add_f32 v[92:93], v[38:39], v[34:35]
	v_pk_add_f32 v[80:81], v[34:35], v[38:39] neg_lo:[0,1] neg_hi:[0,1]
	s_mov_b32 s13, 0xbf75a155
	v_pk_add_f32 v[2:3], v[2:3], v[34:35]
	v_mov_b32_e32 v79, v93
	v_mov_b32_e32 v93, v80
	s_mov_b32 s28, s13
	s_mov_b32 s29, s12
	v_pk_add_f32 v[2:3], v[2:3], v[38:39]
	v_mov_b32_e32 v78, v81
	v_pk_mul_f32 v[82:83], v[92:93], s[28:29]
	v_pk_add_f32 v[2:3], v[2:3], v[26:27]
	v_pk_fma_f32 v[94:95], v[78:79], s[12:13], v[82:83] neg_lo:[1,0,0] neg_hi:[1,0,0]
	v_pk_fma_f32 v[80:81], v[78:79], s[12:13], v[82:83]
	v_pk_add_f32 v[2:3], v[2:3], v[14:15]
	v_mov_b32_e32 v95, v81
	s_movk_i32 s0, 0x58
	v_pk_add_f32 v[2:3], v[2:3], v[10:11]
	v_pk_add_f32 v[90:91], v[94:95], v[90:91]
	v_mad_u32_u24 v87, v40, s0, v87
	v_pk_add_f32 v[2:3], v[2:3], v[6:7]
	s_waitcnt lgkmcnt(0)
	; wave barrier
	ds_write2_b64 v87, v[2:3], v[90:91] offset1:1
	v_pk_mul_f32 v[2:3], v[66:67], s[30:31]
	v_pk_mul_f32 v[14:15], v[64:65], s[24:25]
	v_pk_fma_f32 v[6:7], v[44:45], s[6:7], v[2:3] neg_lo:[1,0,0] neg_hi:[1,0,0]
	v_pk_fma_f32 v[10:11], v[44:45], s[6:7], v[2:3]
	v_pk_fma_f32 v[18:19], v[54:55], s[10:11], v[14:15] neg_lo:[1,0,0] neg_hi:[1,0,0]
	v_mov_b32_e32 v7, v11
	v_pk_fma_f32 v[22:23], v[54:55], s[10:11], v[14:15]
	s_mov_b32 s16, 0x3e903f40
	v_pk_add_f32 v[6:7], v[46:47], v[6:7]
	v_mov_b32_e32 v19, v23
	s_mov_b32 s40, s13
	s_mov_b32 s41, s16
	v_pk_add_f32 v[6:7], v[18:19], v[6:7]
	s_mov_b32 s17, s13
	v_pk_mul_f32 v[18:19], v[56:57], s[40:41]
	s_mov_b32 s18, 0x3f7d64f0
	v_pk_fma_f32 v[26:27], v[62:63], s[16:17], v[18:19] neg_lo:[1,0,0] neg_hi:[1,0,0]
	v_pk_fma_f32 v[30:31], v[62:63], s[16:17], v[18:19]
	s_mov_b32 s38, s9
	v_mov_b32_e32 v27, v31
	s_mov_b32 s39, s18
	v_pk_add_f32 v[6:7], v[26:27], v[6:7]
	s_mov_b32 s19, s9
	v_pk_mul_f32 v[26:27], v[88:89], s[38:39]
	s_mov_b32 s20, 0x3f0a6770
	v_pk_fma_f32 v[34:35], v[72:73], s[18:19], v[26:27] neg_lo:[1,0,0] neg_hi:[1,0,0]
	v_pk_fma_f32 v[38:39], v[72:73], s[18:19], v[26:27]
	s_mov_b32 s34, s3
	v_mov_b32_e32 v35, v39
	s_mov_b32 s35, s20
	v_pk_add_f32 v[6:7], v[34:35], v[6:7]
	s_mov_b32 s21, s3
	v_pk_mul_f32 v[34:35], v[92:93], s[34:35]
	v_pk_mul_f32 v[100:101], v[64:65], s[40:41]
	v_pk_fma_f32 v[90:91], v[78:79], s[20:21], v[34:35] neg_lo:[1,0,0] neg_hi:[1,0,0]
	v_pk_fma_f32 v[94:95], v[78:79], s[20:21], v[34:35]
	v_pk_fma_f32 v[102:103], v[54:55], s[16:17], v[100:101] neg_lo:[1,0,0] neg_hi:[1,0,0]
	v_mov_b32_e32 v91, v95
	v_pk_add_f32 v[6:7], v[90:91], v[6:7]
	v_pk_mul_f32 v[90:91], v[66:67], s[22:23]
	v_pk_fma_f32 v[104:105], v[54:55], s[16:17], v[100:101]
	v_pk_fma_f32 v[96:97], v[44:45], s[8:9], v[90:91] neg_lo:[1,0,0] neg_hi:[1,0,0]
	v_pk_fma_f32 v[98:99], v[44:45], s[8:9], v[90:91]
	s_mov_b32 s26, 0x3f68dda4
	v_mov_b32_e32 v97, v99
	v_pk_add_f32 v[96:97], v[46:47], v[96:97]
	v_mov_b32_e32 v103, v105
	s_mov_b32 s36, s7
	s_mov_b32 s37, s26
	v_pk_add_f32 v[96:97], v[102:103], v[96:97]
	s_mov_b32 s27, s7
	v_pk_mul_f32 v[102:103], v[56:57], s[36:37]
	v_pk_mul_f32 v[118:119], v[64:65], s[38:39]
	v_pk_fma_f32 v[106:107], v[62:63], s[26:27], v[102:103] neg_lo:[1,0,0] neg_hi:[1,0,0]
	v_pk_fma_f32 v[108:109], v[62:63], s[26:27], v[102:103]
	v_pk_fma_f32 v[120:121], v[54:55], s[18:19], v[118:119] neg_lo:[1,0,0] neg_hi:[1,0,0]
	v_mov_b32_e32 v107, v109
	v_pk_add_f32 v[96:97], v[106:107], v[96:97]
	v_pk_mul_f32 v[106:107], v[88:89], s[14:15]
	v_pk_fma_f32 v[122:123], v[54:55], s[18:19], v[118:119]
	v_pk_fma_f32 v[110:111], v[72:73], s[2:3], v[106:107] neg_lo:[1,0,0] neg_hi:[1,0,0]
	v_pk_fma_f32 v[112:113], v[72:73], s[2:3], v[106:107]
	v_mov_b32_e32 v121, v123
	v_mov_b32_e32 v111, v113
	v_pk_add_f32 v[96:97], v[110:111], v[96:97]
	v_pk_mul_f32 v[110:111], v[92:93], s[24:25]
	v_pk_mul_f32 v[64:65], v[64:65], s[34:35]
	v_pk_fma_f32 v[114:115], v[78:79], s[10:11], v[110:111] neg_lo:[1,0,0] neg_hi:[1,0,0]
	v_pk_fma_f32 v[116:117], v[78:79], s[10:11], v[110:111]
	v_pk_fma_f32 v[138:139], v[54:55], s[20:21], v[64:65] neg_lo:[1,0,0] neg_hi:[1,0,0]
	v_mov_b32_e32 v115, v117
	v_pk_add_f32 v[96:97], v[114:115], v[96:97]
	ds_write2_b64 v87, v[6:7], v[96:97] offset0:2 offset1:3
	v_pk_mul_f32 v[6:7], v[66:67], s[24:25]
	v_pk_mul_f32 v[66:67], v[66:67], s[28:29]
	v_pk_fma_f32 v[96:97], v[44:45], s[10:11], v[6:7] neg_lo:[1,0,0] neg_hi:[1,0,0]
	v_pk_fma_f32 v[114:115], v[44:45], s[10:11], v[6:7]
	v_pk_fma_f32 v[136:137], v[44:45], s[12:13], v[66:67]
	v_mov_b32_e32 v97, v115
	v_pk_add_f32 v[96:97], v[46:47], v[96:97]
	v_pk_fma_f32 v[140:141], v[54:55], s[20:21], v[64:65]
	v_pk_add_f32 v[96:97], v[120:121], v[96:97]
	v_pk_mul_f32 v[120:121], v[56:57], s[14:15]
	v_mov_b32_e32 v139, v141
	v_pk_fma_f32 v[124:125], v[62:63], s[2:3], v[120:121] neg_lo:[1,0,0] neg_hi:[1,0,0]
	v_pk_fma_f32 v[126:127], v[62:63], s[2:3], v[120:121]
	v_pk_mul_f32 v[56:57], v[56:57], s[24:25]
	v_mov_b32_e32 v125, v127
	v_pk_add_f32 v[96:97], v[124:125], v[96:97]
	v_pk_mul_f32 v[124:125], v[88:89], s[28:29]
	v_pk_fma_f32 v[142:143], v[62:63], s[10:11], v[56:57]
	v_pk_fma_f32 v[128:129], v[72:73], s[12:13], v[124:125] neg_lo:[1,0,0] neg_hi:[1,0,0]
	v_pk_fma_f32 v[130:131], v[72:73], s[12:13], v[124:125]
	v_pk_fma_f32 v[64:65], v[54:55], s[20:21], v[64:65] neg_lo:[0,0,1] neg_hi:[0,0,1]
	v_mov_b32_e32 v129, v131
	v_pk_add_f32 v[96:97], v[128:129], v[96:97]
	v_pk_mul_f32 v[128:129], v[92:93], s[36:37]
	v_pk_mul_f32 v[88:89], v[88:89], s[36:37]
	v_pk_fma_f32 v[132:133], v[78:79], s[26:27], v[128:129] neg_lo:[1,0,0] neg_hi:[1,0,0]
	v_pk_fma_f32 v[134:135], v[78:79], s[26:27], v[128:129]
	v_mov_b32_e32 v141, v65
	v_mov_b32_e32 v133, v135
	v_pk_add_f32 v[96:97], v[132:133], v[96:97]
	v_pk_fma_f32 v[132:133], v[44:45], s[12:13], v[66:67] neg_lo:[1,0,0] neg_hi:[1,0,0]
	v_pk_fma_f32 v[66:67], v[44:45], s[12:13], v[66:67] neg_lo:[0,0,1] neg_hi:[0,0,1]
	v_mov_b32_e32 v133, v137
	v_pk_add_f32 v[132:133], v[46:47], v[132:133]
	v_mov_b32_e32 v137, v67
	v_pk_add_f32 v[132:133], v[138:139], v[132:133]
	v_pk_fma_f32 v[138:139], v[62:63], s[10:11], v[56:57] neg_lo:[1,0,0] neg_hi:[1,0,0]
	v_pk_add_f32 v[64:65], v[46:47], v[136:137]
	v_mov_b32_e32 v139, v143
	v_pk_fma_f32 v[56:57], v[62:63], s[10:11], v[56:57] neg_lo:[0,0,1] neg_hi:[0,0,1]
	v_pk_add_f32 v[132:133], v[138:139], v[132:133]
	v_pk_fma_f32 v[138:139], v[72:73], s[26:27], v[88:89] neg_lo:[1,0,0] neg_hi:[1,0,0]
	v_pk_fma_f32 v[144:145], v[72:73], s[26:27], v[88:89]
	v_pk_add_f32 v[64:65], v[140:141], v[64:65]
	v_mov_b32_e32 v143, v57
	v_mov_b32_e32 v139, v145
	v_pk_mul_f32 v[92:93], v[92:93], s[22:23]
	v_pk_add_f32 v[56:57], v[142:143], v[64:65]
	v_pk_fma_f32 v[64:65], v[72:73], s[26:27], v[88:89] neg_lo:[0,0,1] neg_hi:[0,0,1]
	v_pk_fma_f32 v[6:7], v[44:45], s[10:11], v[6:7] neg_lo:[0,0,1] neg_hi:[0,0,1]
	v_pk_add_f32 v[132:133], v[138:139], v[132:133]
	v_pk_fma_f32 v[138:139], v[78:79], s[8:9], v[92:93] neg_lo:[1,0,0] neg_hi:[1,0,0]
	v_pk_fma_f32 v[146:147], v[78:79], s[8:9], v[92:93]
	v_mov_b32_e32 v145, v65
	v_pk_fma_f32 v[64:65], v[78:79], s[8:9], v[92:93] neg_lo:[0,0,1] neg_hi:[0,0,1]
	v_mov_b32_e32 v115, v7
	v_pk_fma_f32 v[6:7], v[54:55], s[18:19], v[118:119] neg_lo:[0,0,1] neg_hi:[0,0,1]
	v_mov_b32_e32 v139, v147
	v_mov_b32_e32 v147, v65
	;; [unrolled: 1-line block ×3, first 2 shown]
	v_pk_add_f32 v[6:7], v[46:47], v[114:115]
	v_pk_fma_f32 v[64:65], v[62:63], s[2:3], v[120:121] neg_lo:[0,0,1] neg_hi:[0,0,1]
	v_pk_add_f32 v[6:7], v[122:123], v[6:7]
	v_mov_b32_e32 v127, v65
	v_pk_fma_f32 v[64:65], v[72:73], s[12:13], v[124:125] neg_lo:[0,0,1] neg_hi:[0,0,1]
	v_pk_add_f32 v[6:7], v[126:127], v[6:7]
	v_mov_b32_e32 v131, v65
	v_pk_fma_f32 v[64:65], v[78:79], s[26:27], v[128:129] neg_lo:[0,0,1] neg_hi:[0,0,1]
	v_pk_add_f32 v[56:57], v[144:145], v[56:57]
	v_pk_add_f32 v[6:7], v[130:131], v[6:7]
	v_mov_b32_e32 v135, v65
	v_pk_add_f32 v[56:57], v[146:147], v[56:57]
	v_pk_add_f32 v[6:7], v[134:135], v[6:7]
	ds_write2_b64 v87, v[56:57], v[6:7] offset0:6 offset1:7
	v_pk_fma_f32 v[6:7], v[44:45], s[8:9], v[90:91] neg_lo:[0,0,1] neg_hi:[0,0,1]
	v_pk_fma_f32 v[2:3], v[44:45], s[6:7], v[2:3] neg_lo:[0,0,1] neg_hi:[0,0,1]
	v_mov_b32_e32 v99, v7
	v_pk_fma_f32 v[6:7], v[54:55], s[16:17], v[100:101] neg_lo:[0,0,1] neg_hi:[0,0,1]
	v_mov_b32_e32 v11, v3
	;; [unrolled: 2-line block ×3, first 2 shown]
	v_pk_add_f32 v[6:7], v[46:47], v[98:99]
	v_pk_fma_f32 v[56:57], v[62:63], s[26:27], v[102:103] neg_lo:[0,0,1] neg_hi:[0,0,1]
	v_mov_b32_e32 v23, v3
	v_pk_add_f32 v[2:3], v[46:47], v[10:11]
	v_pk_fma_f32 v[10:11], v[62:63], s[16:17], v[18:19] neg_lo:[0,0,1] neg_hi:[0,0,1]
	v_pk_add_f32 v[6:7], v[104:105], v[6:7]
	v_mov_b32_e32 v109, v57
	v_pk_fma_f32 v[56:57], v[72:73], s[2:3], v[106:107] neg_lo:[0,0,1] neg_hi:[0,0,1]
	v_pk_add_f32 v[2:3], v[22:23], v[2:3]
	v_mov_b32_e32 v31, v11
	;; [unrolled: 3-line block ×5, first 2 shown]
	v_pk_add_f32 v[2:3], v[38:39], v[2:3]
	v_mov_b32_e32 v95, v11
	v_pk_add_f32 v[6:7], v[116:117], v[6:7]
	v_pk_add_f32 v[2:3], v[94:95], v[2:3]
	ds_write2_b64 v87, v[6:7], v[2:3] offset0:8 offset1:9
	v_pk_fma_f32 v[2:3], v[44:45], s[2:3], v[48:49] neg_lo:[0,0,1] neg_hi:[0,0,1]
	v_pk_fma_f32 v[6:7], v[54:55], s[6:7], v[60:61] neg_lo:[0,0,1] neg_hi:[0,0,1]
	v_mov_b32_e32 v51, v3
	v_pk_add_f32 v[2:3], v[46:47], v[50:51]
	v_mov_b32_e32 v59, v7
	v_pk_fma_f32 v[6:7], v[62:63], s[8:9], v[68:69] neg_lo:[0,0,1] neg_hi:[0,0,1]
	v_pk_add_f32 v[2:3], v[58:59], v[2:3]
	v_mov_b32_e32 v71, v7
	v_pk_fma_f32 v[6:7], v[72:73], s[10:11], v[74:75] neg_lo:[0,0,1] neg_hi:[0,0,1]
	;; [unrolled: 3-line block ×3, first 2 shown]
	v_pk_add_f32 v[2:3], v[76:77], v[2:3]
	v_mov_b32_e32 v81, v7
	v_pk_add_f32 v[132:133], v[138:139], v[132:133]
	v_pk_add_f32 v[2:3], v[80:81], v[2:3]
	v_cmp_gt_u32_e64 s[0:1], 4, v40
	ds_write2_b64 v87, v[96:97], v[132:133] offset0:4 offset1:5
	ds_write_b64 v87, v[2:3] offset:80
	s_and_saveexec_b64 s[42:43], s[0:1]
	s_cbranch_execz .LBB0_14
; %bb.13:
	v_pk_add_f32 v[22:23], v[16:17], v[52:53] neg_lo:[0,1] neg_hi:[0,1]
	v_pk_add_f32 v[18:19], v[52:53], v[16:17]
	v_pk_add_f32 v[16:17], v[0:1], v[16:17]
	v_pk_add_f32 v[34:35], v[32:33], v[12:13] neg_lo:[0,1] neg_hi:[0,1]
	v_pk_add_f32 v[16:17], v[16:17], v[20:21]
	v_pk_add_f32 v[6:7], v[12:13], v[32:33]
	v_pk_add_f32 v[16:17], v[16:17], v[28:29]
	v_pk_add_f32 v[30:31], v[28:29], v[8:9] neg_lo:[0,1] neg_hi:[0,1]
	v_pk_add_f32 v[16:17], v[16:17], v[32:33]
	;; [unrolled: 4-line block ×4, first 2 shown]
	v_pk_add_f32 v[2:3], v[24:25], v[36:37]
	v_pk_add_f32 v[4:5], v[8:9], v[4:5]
	v_mov_b32_e32 v36, v18
	v_mov_b32_e32 v37, v22
	v_pk_add_f32 v[32:33], v[4:5], v[52:53]
	v_pk_mul_f32 v[4:5], v[36:37], s[14:15]
	v_mov_b32_e32 v18, v23
	v_mul_i32_i24_e32 v44, 0x58, v85
	v_pk_fma_f32 v[12:13], v[18:19], s[2:3], v[4:5] neg_lo:[1,0,0] neg_hi:[1,0,0]
	v_pk_fma_f32 v[8:9], v[18:19], s[2:3], v[4:5]
	v_add3_u32 v87, 0, v44, v86
	v_mov_b32_e32 v13, v9
	v_mov_b32_e32 v44, v14
	v_mov_b32_e32 v45, v26
	v_pk_add_f32 v[20:21], v[0:1], v[12:13]
	v_pk_mul_f32 v[12:13], v[44:45], s[30:31]
	v_mov_b32_e32 v14, v27
	v_pk_fma_f32 v[22:23], v[14:15], s[6:7], v[12:13] neg_lo:[1,0,0] neg_hi:[1,0,0]
	v_pk_fma_f32 v[16:17], v[14:15], s[6:7], v[12:13]
	v_mov_b32_e32 v46, v10
	v_mov_b32_e32 v23, v17
	v_mov_b32_e32 v47, v30
	v_pk_add_f32 v[24:25], v[22:23], v[20:21]
	v_pk_mul_f32 v[20:21], v[46:47], s[22:23]
	v_mov_b32_e32 v10, v31
	v_pk_fma_f32 v[26:27], v[10:11], s[8:9], v[20:21] neg_lo:[1,0,0] neg_hi:[1,0,0]
	v_pk_fma_f32 v[22:23], v[10:11], s[8:9], v[20:21]
	;; [unrolled: 8-line block ×4, first 2 shown]
	v_pk_mul_f32 v[52:53], v[44:45], s[24:25]
	v_mov_b32_e32 v39, v31
	v_pk_add_f32 v[34:35], v[38:39], v[34:35]
	ds_write2_b64 v87, v[32:33], v[34:35] offset1:1
	v_pk_mul_f32 v[32:33], v[36:37], s[30:31]
	v_pk_fma_f32 v[54:55], v[14:15], s[10:11], v[52:53] neg_lo:[1,0,0] neg_hi:[1,0,0]
	v_pk_fma_f32 v[34:35], v[18:19], s[6:7], v[32:33] neg_lo:[1,0,0] neg_hi:[1,0,0]
	v_pk_fma_f32 v[38:39], v[18:19], s[6:7], v[32:33]
	v_pk_fma_f32 v[56:57], v[14:15], s[10:11], v[52:53]
	v_mov_b32_e32 v35, v39
	v_pk_add_f32 v[34:35], v[0:1], v[34:35]
	v_mov_b32_e32 v55, v57
	v_pk_add_f32 v[34:35], v[54:55], v[34:35]
	v_pk_mul_f32 v[54:55], v[46:47], s[40:41]
	v_pk_mul_f32 v[74:75], v[44:45], s[40:41]
	v_pk_fma_f32 v[58:59], v[10:11], s[16:17], v[54:55] neg_lo:[1,0,0] neg_hi:[1,0,0]
	v_pk_fma_f32 v[60:61], v[10:11], s[16:17], v[54:55]
	v_pk_fma_f32 v[76:77], v[14:15], s[16:17], v[74:75] neg_lo:[1,0,0] neg_hi:[1,0,0]
	v_mov_b32_e32 v59, v61
	v_pk_add_f32 v[34:35], v[58:59], v[34:35]
	v_pk_mul_f32 v[58:59], v[48:49], s[38:39]
	v_pk_fma_f32 v[78:79], v[14:15], s[16:17], v[74:75]
	v_pk_fma_f32 v[62:63], v[6:7], s[18:19], v[58:59] neg_lo:[1,0,0] neg_hi:[1,0,0]
	v_pk_fma_f32 v[64:65], v[6:7], s[18:19], v[58:59]
	v_mov_b32_e32 v77, v79
	v_mov_b32_e32 v63, v65
	v_pk_add_f32 v[34:35], v[62:63], v[34:35]
	v_pk_mul_f32 v[62:63], v[50:51], s[34:35]
	v_pk_mul_f32 v[96:97], v[44:45], s[38:39]
	v_pk_fma_f32 v[66:67], v[2:3], s[20:21], v[62:63] neg_lo:[1,0,0] neg_hi:[1,0,0]
	v_pk_fma_f32 v[68:69], v[2:3], s[20:21], v[62:63]
	v_pk_fma_f32 v[98:99], v[14:15], s[18:19], v[96:97] neg_lo:[1,0,0] neg_hi:[1,0,0]
	v_mov_b32_e32 v67, v69
	v_pk_add_f32 v[34:35], v[66:67], v[34:35]
	v_pk_mul_f32 v[66:67], v[36:37], s[22:23]
	v_pk_fma_f32 v[100:101], v[14:15], s[18:19], v[96:97]
	v_pk_fma_f32 v[70:71], v[18:19], s[8:9], v[66:67] neg_lo:[1,0,0] neg_hi:[1,0,0]
	v_pk_fma_f32 v[72:73], v[18:19], s[8:9], v[66:67]
	v_mov_b32_e32 v99, v101
	v_mov_b32_e32 v71, v73
	v_pk_add_f32 v[70:71], v[0:1], v[70:71]
	v_pk_mul_f32 v[44:45], v[44:45], s[34:35]
	v_pk_add_f32 v[70:71], v[76:77], v[70:71]
	v_pk_mul_f32 v[76:77], v[46:47], s[36:37]
	v_pk_fma_f32 v[116:117], v[14:15], s[20:21], v[44:45] neg_lo:[1,0,0] neg_hi:[1,0,0]
	v_pk_fma_f32 v[80:81], v[10:11], s[26:27], v[76:77] neg_lo:[1,0,0] neg_hi:[1,0,0]
	v_pk_fma_f32 v[82:83], v[10:11], s[26:27], v[76:77]
	v_pk_fma_f32 v[118:119], v[14:15], s[20:21], v[44:45]
	v_mov_b32_e32 v81, v83
	v_pk_add_f32 v[70:71], v[80:81], v[70:71]
	v_pk_mul_f32 v[80:81], v[48:49], s[14:15]
	v_mov_b32_e32 v117, v119
	v_pk_fma_f32 v[88:89], v[6:7], s[2:3], v[80:81] neg_lo:[1,0,0] neg_hi:[1,0,0]
	v_pk_fma_f32 v[90:91], v[6:7], s[2:3], v[80:81]
	v_pk_fma_f32 v[44:45], v[14:15], s[20:21], v[44:45] neg_lo:[0,0,1] neg_hi:[0,0,1]
	v_mov_b32_e32 v89, v91
	v_pk_add_f32 v[70:71], v[88:89], v[70:71]
	v_pk_mul_f32 v[88:89], v[50:51], s[24:25]
	v_mov_b32_e32 v119, v45
	v_pk_fma_f32 v[92:93], v[2:3], s[10:11], v[88:89] neg_lo:[1,0,0] neg_hi:[1,0,0]
	v_pk_fma_f32 v[94:95], v[2:3], s[10:11], v[88:89]
	v_pk_fma_f32 v[32:33], v[18:19], s[6:7], v[32:33] neg_lo:[0,0,1] neg_hi:[0,0,1]
	v_mov_b32_e32 v93, v95
	v_pk_add_f32 v[70:71], v[92:93], v[70:71]
	ds_write2_b64 v87, v[34:35], v[70:71] offset0:2 offset1:3
	v_pk_mul_f32 v[34:35], v[36:37], s[24:25]
	v_pk_mul_f32 v[36:37], v[36:37], s[28:29]
	v_pk_fma_f32 v[70:71], v[18:19], s[10:11], v[34:35] neg_lo:[1,0,0] neg_hi:[1,0,0]
	v_pk_fma_f32 v[92:93], v[18:19], s[10:11], v[34:35]
	v_pk_fma_f32 v[114:115], v[18:19], s[12:13], v[36:37]
	v_mov_b32_e32 v71, v93
	v_pk_add_f32 v[70:71], v[0:1], v[70:71]
	v_pk_fma_f32 v[34:35], v[18:19], s[10:11], v[34:35] neg_lo:[0,0,1] neg_hi:[0,0,1]
	v_pk_add_f32 v[70:71], v[98:99], v[70:71]
	v_pk_mul_f32 v[98:99], v[46:47], s[14:15]
	v_pk_mul_f32 v[46:47], v[46:47], s[24:25]
	v_pk_fma_f32 v[102:103], v[10:11], s[2:3], v[98:99] neg_lo:[1,0,0] neg_hi:[1,0,0]
	v_pk_fma_f32 v[104:105], v[10:11], s[2:3], v[98:99]
	v_pk_fma_f32 v[120:121], v[10:11], s[10:11], v[46:47]
	v_mov_b32_e32 v103, v105
	v_pk_add_f32 v[70:71], v[102:103], v[70:71]
	v_pk_mul_f32 v[102:103], v[48:49], s[28:29]
	v_pk_mul_f32 v[48:49], v[48:49], s[36:37]
	v_pk_fma_f32 v[106:107], v[6:7], s[12:13], v[102:103] neg_lo:[1,0,0] neg_hi:[1,0,0]
	v_pk_fma_f32 v[108:109], v[6:7], s[12:13], v[102:103]
	v_pk_fma_f32 v[122:123], v[6:7], s[26:27], v[48:49]
	v_mov_b32_e32 v107, v109
	v_pk_add_f32 v[70:71], v[106:107], v[70:71]
	v_pk_mul_f32 v[106:107], v[50:51], s[36:37]
	v_pk_fma_f32 v[44:45], v[10:11], s[10:11], v[46:47] neg_lo:[0,0,1] neg_hi:[0,0,1]
	v_pk_fma_f32 v[110:111], v[2:3], s[26:27], v[106:107] neg_lo:[1,0,0] neg_hi:[1,0,0]
	v_pk_fma_f32 v[112:113], v[2:3], s[26:27], v[106:107]
	v_pk_mul_f32 v[50:51], v[50:51], s[22:23]
	v_mov_b32_e32 v111, v113
	v_pk_add_f32 v[70:71], v[110:111], v[70:71]
	v_pk_fma_f32 v[110:111], v[18:19], s[12:13], v[36:37] neg_lo:[1,0,0] neg_hi:[1,0,0]
	v_pk_fma_f32 v[124:125], v[2:3], s[8:9], v[50:51]
	v_mov_b32_e32 v111, v115
	v_pk_add_f32 v[110:111], v[0:1], v[110:111]
	v_pk_fma_f32 v[36:37], v[18:19], s[12:13], v[36:37] neg_lo:[0,0,1] neg_hi:[0,0,1]
	v_pk_add_f32 v[110:111], v[116:117], v[110:111]
	v_pk_fma_f32 v[116:117], v[10:11], s[10:11], v[46:47] neg_lo:[1,0,0] neg_hi:[1,0,0]
	v_mov_b32_e32 v115, v37
	v_mov_b32_e32 v117, v121
	v_pk_add_f32 v[110:111], v[116:117], v[110:111]
	v_pk_fma_f32 v[116:117], v[6:7], s[26:27], v[48:49] neg_lo:[1,0,0] neg_hi:[1,0,0]
	v_mov_b32_e32 v121, v45
	v_mov_b32_e32 v117, v123
	v_pk_fma_f32 v[44:45], v[6:7], s[26:27], v[48:49] neg_lo:[0,0,1] neg_hi:[0,0,1]
	v_pk_add_f32 v[110:111], v[116:117], v[110:111]
	v_pk_fma_f32 v[116:117], v[2:3], s[8:9], v[50:51] neg_lo:[1,0,0] neg_hi:[1,0,0]
	v_mov_b32_e32 v123, v45
	v_pk_fma_f32 v[44:45], v[2:3], s[8:9], v[50:51] neg_lo:[0,0,1] neg_hi:[0,0,1]
	v_mov_b32_e32 v117, v125
	v_mov_b32_e32 v125, v45
	;; [unrolled: 1-line block ×3, first 2 shown]
	v_pk_fma_f32 v[44:45], v[14:15], s[18:19], v[96:97] neg_lo:[0,0,1] neg_hi:[0,0,1]
	v_pk_add_f32 v[36:37], v[0:1], v[114:115]
	v_pk_add_f32 v[34:35], v[0:1], v[92:93]
	v_mov_b32_e32 v101, v45
	v_pk_fma_f32 v[44:45], v[10:11], s[2:3], v[98:99] neg_lo:[0,0,1] neg_hi:[0,0,1]
	v_pk_add_f32 v[36:37], v[118:119], v[36:37]
	v_pk_add_f32 v[34:35], v[100:101], v[34:35]
	v_mov_b32_e32 v105, v45
	;; [unrolled: 4-line block ×4, first 2 shown]
	v_pk_add_f32 v[36:37], v[124:125], v[36:37]
	v_pk_add_f32 v[34:35], v[112:113], v[34:35]
	ds_write2_b64 v87, v[36:37], v[34:35] offset0:6 offset1:7
	v_pk_fma_f32 v[36:37], v[14:15], s[16:17], v[74:75] neg_lo:[0,0,1] neg_hi:[0,0,1]
	v_pk_fma_f32 v[34:35], v[18:19], s[8:9], v[66:67] neg_lo:[0,0,1] neg_hi:[0,0,1]
	v_mov_b32_e32 v79, v37
	v_pk_fma_f32 v[36:37], v[10:11], s[26:27], v[76:77] neg_lo:[0,0,1] neg_hi:[0,0,1]
	v_pk_fma_f32 v[4:5], v[18:19], s[2:3], v[4:5] neg_lo:[0,0,1] neg_hi:[0,0,1]
	v_mov_b32_e32 v83, v37
	v_pk_fma_f32 v[36:37], v[6:7], s[2:3], v[80:81] neg_lo:[0,0,1] neg_hi:[0,0,1]
	v_mov_b32_e32 v73, v35
	v_mov_b32_e32 v91, v37
	v_pk_fma_f32 v[36:37], v[2:3], s[10:11], v[88:89] neg_lo:[0,0,1] neg_hi:[0,0,1]
	v_mov_b32_e32 v39, v33
	v_mov_b32_e32 v95, v37
	v_pk_fma_f32 v[36:37], v[14:15], s[10:11], v[52:53] neg_lo:[0,0,1] neg_hi:[0,0,1]
	v_mov_b32_e32 v9, v5
	v_pk_fma_f32 v[4:5], v[14:15], s[6:7], v[12:13] neg_lo:[0,0,1] neg_hi:[0,0,1]
	v_pk_add_f32 v[34:35], v[0:1], v[72:73]
	v_pk_add_f32 v[32:33], v[0:1], v[38:39]
	v_mov_b32_e32 v57, v37
	v_pk_fma_f32 v[36:37], v[10:11], s[16:17], v[54:55] neg_lo:[0,0,1] neg_hi:[0,0,1]
	v_pk_add_f32 v[0:1], v[0:1], v[8:9]
	v_mov_b32_e32 v17, v5
	v_pk_fma_f32 v[4:5], v[10:11], s[8:9], v[20:21] neg_lo:[0,0,1] neg_hi:[0,0,1]
	v_pk_add_f32 v[34:35], v[78:79], v[34:35]
	v_pk_add_f32 v[32:33], v[56:57], v[32:33]
	v_mov_b32_e32 v61, v37
	v_pk_fma_f32 v[36:37], v[6:7], s[18:19], v[58:59] neg_lo:[0,0,1] neg_hi:[0,0,1]
	v_pk_add_f32 v[0:1], v[16:17], v[0:1]
	v_mov_b32_e32 v23, v5
	;; [unrolled: 7-line block ×3, first 2 shown]
	v_pk_fma_f32 v[2:3], v[2:3], s[12:13], v[28:29] neg_lo:[0,0,1] neg_hi:[0,0,1]
	v_pk_add_f32 v[34:35], v[90:91], v[34:35]
	v_pk_add_f32 v[32:33], v[64:65], v[32:33]
	v_mov_b32_e32 v69, v37
	v_pk_add_f32 v[0:1], v[26:27], v[0:1]
	v_mov_b32_e32 v31, v3
	v_pk_add_f32 v[110:111], v[116:117], v[110:111]
	v_pk_add_f32 v[34:35], v[94:95], v[34:35]
	v_pk_add_f32 v[32:33], v[68:69], v[32:33]
	v_pk_add_f32 v[0:1], v[30:31], v[0:1]
	ds_write2_b64 v87, v[70:71], v[110:111] offset0:4 offset1:5
	ds_write2_b64 v87, v[34:35], v[32:33] offset0:8 offset1:9
	ds_write_b64 v87, v[0:1] offset:80
.LBB0_14:
	s_or_b64 exec, exec, s[42:43]
	v_lshlrev_b32_e32 v8, 2, v40
	v_mov_b32_e32 v9, 0
	v_lshl_add_u64 v[0:1], v[8:9], 3, s[4:5]
	s_waitcnt lgkmcnt(0)
	; wave barrier
	s_waitcnt lgkmcnt(0)
	global_load_dwordx4 v[10:13], v[0:1], off
	global_load_dwordx4 v[14:17], v[0:1], off offset:16
	v_lshlrev_b32_e32 v8, 3, v85
	v_add_u32_e32 v72, 22, v40
	s_movk_i32 s1, 0x75
	v_add3_u32 v73, 0, v8, v86
	v_mul_lo_u16_sdwa v8, v72, s1 dst_sel:DWORD dst_unused:UNUSED_PAD src0_sel:BYTE_0 src1_sel:DWORD
	v_sub_u16_sdwa v35, v72, v8 dst_sel:DWORD dst_unused:UNUSED_PAD src0_sel:DWORD src1_sel:BYTE_1
	v_lshrrev_b16_e32 v35, 1, v35
	v_and_b32_e32 v35, 0x7f, v35
	v_add_u16_sdwa v8, v35, v8 dst_sel:DWORD dst_unused:UNUSED_PAD src0_sel:DWORD src1_sel:BYTE_1
	v_lshrrev_b16_e32 v8, 3, v8
	v_mul_lo_u16_e32 v8, 11, v8
	v_mov_b32_e32 v34, 5
	v_sub_u16_e32 v74, v72, v8
	v_lshlrev_b32_sdwa v8, v34, v74 dst_sel:DWORD dst_unused:UNUSED_PAD src0_sel:DWORD src1_sel:BYTE_0
	ds_read2_b64 v[0:3], v41 offset0:22 offset1:33
	ds_read2_b64 v[18:21], v41 offset0:66 offset1:77
	;; [unrolled: 1-line block ×3, first 2 shown]
	ds_read_b64 v[38:39], v84
	ds_read2_b64 v[22:25], v41 offset0:132 offset1:143
	ds_read2_b64 v[26:29], v41 offset0:44 offset1:55
	;; [unrolled: 1-line block ×3, first 2 shown]
	ds_read_b64 v[48:49], v73
	ds_read_b64 v[50:51], v41 offset:1232
	global_load_dwordx4 v[34:37], v8, s[4:5] offset:16
	global_load_dwordx4 v[44:47], v8, s[4:5]
	s_mov_b32 s2, 0x3f737871
	s_mov_b32 s6, 0x3f167918
	;; [unrolled: 1-line block ×3, first 2 shown]
	s_waitcnt lgkmcnt(0)
	; wave barrier
	s_waitcnt vmcnt(3) lgkmcnt(0)
	v_pk_mul_f32 v[52:53], v[10:11], v[2:3] op_sel:[0,1]
	v_pk_mul_f32 v[54:55], v[12:13], v[18:19] op_sel:[0,1]
	s_waitcnt vmcnt(2)
	v_pk_mul_f32 v[56:57], v[14:15], v[6:7] op_sel:[0,1]
	v_mov_b32_e32 v8, v17
	v_pk_fma_f32 v[58:59], v[10:11], v[2:3], v[52:53] op_sel:[0,0,1] op_sel_hi:[1,1,0] neg_lo:[0,0,1] neg_hi:[0,0,1]
	v_pk_fma_f32 v[2:3], v[10:11], v[2:3], v[52:53] op_sel:[0,0,1] op_sel_hi:[1,0,0]
	v_pk_fma_f32 v[52:53], v[12:13], v[18:19], v[54:55] op_sel:[0,0,1] op_sel_hi:[1,1,0] neg_lo:[0,0,1] neg_hi:[0,0,1]
	v_pk_fma_f32 v[18:19], v[12:13], v[18:19], v[54:55] op_sel:[0,0,1] op_sel_hi:[1,0,0]
	;; [unrolled: 2-line block ×3, first 2 shown]
	v_pk_mul_f32 v[56:57], v[22:23], v[8:9] op_sel_hi:[1,0]
	v_pk_mul_f32 v[60:61], v[24:25], v[8:9] op_sel_hi:[1,0]
	v_mov_b32_e32 v59, v3
	v_mov_b32_e32 v53, v19
	;; [unrolled: 1-line block ×3, first 2 shown]
	v_pk_fma_f32 v[2:3], v[22:23], v[16:17], v[56:57] op_sel:[0,0,1] op_sel_hi:[1,1,0] neg_lo:[0,0,1] neg_hi:[0,0,1]
	v_pk_fma_f32 v[6:7], v[22:23], v[16:17], v[56:57] op_sel:[0,0,1] op_sel_hi:[1,0,0]
	v_pk_fma_f32 v[18:19], v[24:25], v[16:17], v[60:61] op_sel:[0,0,1] op_sel_hi:[1,1,0] neg_lo:[0,0,1] neg_hi:[0,0,1]
	v_pk_fma_f32 v[16:17], v[24:25], v[16:17], v[60:61] op_sel:[0,0,1] op_sel_hi:[1,0,0]
	v_mov_b32_e32 v8, v13
	v_mov_b32_e32 v19, v17
	v_pk_mul_f32 v[16:17], v[26:27], v[10:11] op_sel:[0,1]
	v_mov_b32_e32 v3, v7
	v_pk_fma_f32 v[24:25], v[26:27], v[10:11], v[16:17] op_sel:[0,0,1] op_sel_hi:[1,1,0] neg_lo:[0,0,1] neg_hi:[0,0,1]
	v_pk_fma_f32 v[10:11], v[26:27], v[10:11], v[16:17] op_sel:[0,0,1] op_sel_hi:[1,0,0]
	v_pk_add_f32 v[6:7], v[38:39], v[58:59]
	v_mov_b32_e32 v25, v11
	v_pk_mul_f32 v[10:11], v[20:21], v[8:9] op_sel_hi:[1,0]
	v_pk_add_f32 v[22:23], v[52:53], v[54:55]
	v_pk_add_f32 v[56:57], v[52:53], v[54:55] neg_lo:[0,1] neg_hi:[0,1]
	v_pk_add_f32 v[62:63], v[58:59], v[52:53] neg_lo:[0,1] neg_hi:[0,1]
	;; [unrolled: 1-line block ×3, first 2 shown]
	v_pk_add_f32 v[6:7], v[6:7], v[52:53]
	v_pk_add_f32 v[52:53], v[58:59], v[2:3] neg_lo:[0,1] neg_hi:[0,1]
	v_pk_add_f32 v[58:59], v[58:59], v[2:3]
	v_pk_fma_f32 v[16:17], v[20:21], v[12:13], v[10:11] op_sel:[0,0,1] op_sel_hi:[1,1,0] neg_lo:[0,0,1] neg_hi:[0,0,1]
	v_pk_fma_f32 v[10:11], v[20:21], v[12:13], v[10:11] op_sel:[0,0,1] op_sel_hi:[1,0,0]
	v_pk_fma_f32 v[22:23], v[22:23], 0.5, v[38:39] op_sel_hi:[1,0,1] neg_lo:[1,0,0] neg_hi:[1,0,0]
	v_pk_mul_f32 v[66:67], v[56:57], s[6:7] op_sel_hi:[1,0]
	v_pk_add_f32 v[68:69], v[2:3], v[54:55] neg_lo:[0,1] neg_hi:[0,1]
	v_pk_add_f32 v[70:71], v[54:55], v[2:3] neg_lo:[0,1] neg_hi:[0,1]
	v_pk_mul_f32 v[56:57], v[56:57], s[2:3] op_sel_hi:[1,0]
	v_pk_add_f32 v[6:7], v[6:7], v[54:55]
	v_pk_mul_f32 v[54:55], v[52:53], s[2:3] op_sel_hi:[1,0]
	v_pk_fma_f32 v[38:39], v[58:59], 0.5, v[38:39] op_sel_hi:[1,0,1] neg_lo:[1,0,0] neg_hi:[1,0,0]
	v_mov_b32_e32 v17, v11
	v_pk_mul_f32 v[10:11], v[30:31], v[14:15] op_sel:[0,1]
	v_pk_mul_f32 v[52:53], v[52:53], s[6:7] op_sel_hi:[1,0]
	v_pk_add_f32 v[2:3], v[6:7], v[2:3]
	v_pk_add_f32 v[6:7], v[22:23], v[54:55] op_sel:[0,1] op_sel_hi:[1,0]
	v_pk_add_f32 v[22:23], v[22:23], v[54:55] op_sel:[0,1] op_sel_hi:[1,0] neg_lo:[0,1] neg_hi:[0,1]
	v_pk_add_f32 v[54:55], v[38:39], v[56:57] op_sel:[0,1] op_sel_hi:[1,0] neg_lo:[0,1] neg_hi:[0,1]
	v_pk_add_f32 v[38:39], v[38:39], v[56:57] op_sel:[0,1] op_sel_hi:[1,0]
	v_pk_fma_f32 v[12:13], v[30:31], v[14:15], v[10:11] op_sel:[0,0,1] op_sel_hi:[1,1,0] neg_lo:[0,0,1] neg_hi:[0,0,1]
	v_pk_fma_f32 v[10:11], v[30:31], v[14:15], v[10:11] op_sel:[0,0,1] op_sel_hi:[1,0,0]
	v_pk_add_f32 v[38:39], v[38:39], v[52:53] op_sel:[0,1] op_sel_hi:[1,0] neg_lo:[0,1] neg_hi:[0,1]
	v_pk_add_f32 v[52:53], v[54:55], v[52:53] op_sel:[0,1] op_sel_hi:[1,0]
	v_mov_b32_e32 v13, v11
	v_pk_add_f32 v[58:59], v[64:65], v[70:71]
	v_pk_add_f32 v[22:23], v[22:23], v[66:67] op_sel:[0,1] op_sel_hi:[1,0] neg_lo:[0,1] neg_hi:[0,1]
	v_pk_add_f32 v[6:7], v[6:7], v[66:67] op_sel:[0,1] op_sel_hi:[1,0]
	v_mov_b32_e32 v56, v52
	v_mov_b32_e32 v57, v39
	;; [unrolled: 1-line block ×3, first 2 shown]
	v_pk_add_f32 v[14:15], v[16:17], v[12:13]
	v_pk_add_f32 v[20:21], v[24:25], v[18:19] neg_lo:[0,1] neg_hi:[0,1]
	v_pk_add_f32 v[62:63], v[62:63], v[68:69]
	v_mov_b32_e32 v54, v6
	v_mov_b32_e32 v55, v23
	v_pk_fma_f32 v[52:53], v[58:59], s[0:1], v[56:57] op_sel_hi:[1,0,1]
	v_pk_fma_f32 v[38:39], v[58:59], s[0:1], v[38:39] op_sel_hi:[1,0,1]
	v_pk_add_f32 v[10:11], v[48:49], v[24:25]
	v_pk_fma_f32 v[14:15], v[14:15], 0.5, v[48:49] op_sel_hi:[1,0,1] neg_lo:[1,0,0] neg_hi:[1,0,0]
	v_pk_mul_f32 v[26:27], v[20:21], s[2:3] op_sel_hi:[1,0]
	v_pk_add_f32 v[30:31], v[16:17], v[12:13] neg_lo:[0,1] neg_hi:[0,1]
	v_pk_add_f32 v[56:57], v[24:25], v[16:17] neg_lo:[0,1] neg_hi:[0,1]
	;; [unrolled: 1-line block ×3, first 2 shown]
	v_mov_b32_e32 v23, v7
	v_pk_fma_f32 v[6:7], v[62:63], s[0:1], v[54:55] op_sel_hi:[1,0,1]
	v_pk_add_f32 v[10:11], v[10:11], v[16:17]
	v_pk_mul_f32 v[54:55], v[30:31], s[6:7] op_sel_hi:[1,0]
	v_pk_add_f32 v[56:57], v[56:57], v[58:59]
	v_pk_add_f32 v[58:59], v[14:15], v[26:27] op_sel:[0,1] op_sel_hi:[1,0]
	v_pk_add_f32 v[10:11], v[10:11], v[12:13]
	v_pk_add_f32 v[14:15], v[14:15], v[26:27] op_sel:[0,1] op_sel_hi:[1,0] neg_lo:[0,1] neg_hi:[0,1]
	v_pk_add_f32 v[26:27], v[58:59], v[54:55] op_sel:[0,1] op_sel_hi:[1,0]
	v_pk_add_f32 v[58:59], v[24:25], v[18:19]
	v_pk_add_f32 v[16:17], v[16:17], v[24:25] neg_lo:[0,1] neg_hi:[0,1]
	v_pk_add_f32 v[12:13], v[12:13], v[18:19] neg_lo:[0,1] neg_hi:[0,1]
	v_pk_fma_f32 v[48:49], v[58:59], 0.5, v[48:49] op_sel_hi:[1,0,1] neg_lo:[1,0,0] neg_hi:[1,0,0]
	v_pk_add_f32 v[12:13], v[16:17], v[12:13]
	v_pk_mul_f32 v[16:17], v[30:31], s[2:3] op_sel_hi:[1,0]
	v_pk_add_f32 v[10:11], v[10:11], v[18:19]
	v_pk_mul_f32 v[18:19], v[20:21], s[6:7] op_sel_hi:[1,0]
	v_pk_add_f32 v[20:21], v[48:49], v[16:17] op_sel:[0,1] op_sel_hi:[1,0] neg_lo:[0,1] neg_hi:[0,1]
	v_pk_add_f32 v[16:17], v[48:49], v[16:17] op_sel:[0,1] op_sel_hi:[1,0]
	v_mov_b32_e32 v8, 3
	v_pk_add_f32 v[16:17], v[16:17], v[18:19] op_sel:[0,1] op_sel_hi:[1,0] neg_lo:[0,1] neg_hi:[0,1]
	v_pk_add_f32 v[18:19], v[20:21], v[18:19] op_sel:[0,1] op_sel_hi:[1,0]
	v_mov_b32_e32 v21, v17
	v_mov_b32_e32 v20, v18
	v_mov_b32_e32 v17, v19
	v_pk_fma_f32 v[20:21], v[12:13], s[0:1], v[20:21] op_sel_hi:[1,0,1]
	v_pk_fma_f32 v[12:13], v[12:13], s[0:1], v[16:17] op_sel_hi:[1,0,1]
	v_lshlrev_b32_sdwa v8, v8, v74 dst_sel:DWORD dst_unused:UNUSED_PAD src0_sel:DWORD src1_sel:BYTE_0
	s_waitcnt vmcnt(0)
	v_pk_mul_f32 v[16:17], v[28:29], v[44:45] op_sel:[0,1]
	v_add3_u32 v30, 0, v8, v86
	v_pk_fma_f32 v[18:19], v[28:29], v[44:45], v[16:17] op_sel:[0,0,1] op_sel_hi:[1,1,0] neg_lo:[0,0,1] neg_hi:[0,0,1]
	v_pk_fma_f32 v[16:17], v[28:29], v[44:45], v[16:17] op_sel:[0,0,1] op_sel_hi:[1,0,0]
	v_mov_b32_e32 v8, v47
	v_mov_b32_e32 v19, v17
	v_pk_mul_f32 v[16:17], v[4:5], v[8:9] op_sel_hi:[1,0]
	v_pk_add_f32 v[14:15], v[14:15], v[54:55] op_sel:[0,1] op_sel_hi:[1,0] neg_lo:[0,1] neg_hi:[0,1]
	v_pk_fma_f32 v[24:25], v[4:5], v[46:47], v[16:17] op_sel:[0,0,1] op_sel_hi:[1,1,0] neg_lo:[0,0,1] neg_hi:[0,0,1]
	v_pk_fma_f32 v[4:5], v[4:5], v[46:47], v[16:17] op_sel:[0,0,1] op_sel_hi:[1,0,0]
	v_mov_b32_e32 v54, v26
	v_mov_b32_e32 v25, v5
	v_pk_mul_f32 v[4:5], v[32:33], v[34:35] op_sel:[0,1]
	v_mov_b32_e32 v55, v15
	v_pk_fma_f32 v[16:17], v[32:33], v[34:35], v[4:5] op_sel:[0,0,1] op_sel_hi:[1,1,0] neg_lo:[0,0,1] neg_hi:[0,0,1]
	v_pk_fma_f32 v[4:5], v[32:33], v[34:35], v[4:5] op_sel:[0,0,1] op_sel_hi:[1,0,0]
	v_mov_b32_e32 v15, v27
	v_mov_b32_e32 v4, v37
	;; [unrolled: 1-line block ×3, first 2 shown]
	v_pk_mul_f32 v[4:5], v[50:51], v[4:5] op_sel_hi:[1,0]
	v_pk_fma_f32 v[22:23], v[62:63], s[0:1], v[22:23] op_sel_hi:[1,0,1]
	v_pk_fma_f32 v[26:27], v[50:51], v[36:37], v[4:5] op_sel:[0,0,1] op_sel_hi:[1,1,0] neg_lo:[0,0,1] neg_hi:[0,0,1]
	v_pk_fma_f32 v[4:5], v[50:51], v[36:37], v[4:5] op_sel:[0,0,1] op_sel_hi:[1,0,0]
	v_pk_fma_f32 v[54:55], v[56:57], s[0:1], v[54:55] op_sel_hi:[1,0,1]
	v_mov_b32_e32 v27, v5
	v_pk_fma_f32 v[14:15], v[56:57], s[0:1], v[14:15] op_sel_hi:[1,0,1]
	ds_write2_b64 v41, v[2:3], v[6:7] offset1:11
	ds_write2_b64 v41, v[52:53], v[38:39] offset0:22 offset1:33
	ds_write2_b64 v41, v[22:23], v[10:11] offset0:44 offset1:55
	;; [unrolled: 1-line block ×4, first 2 shown]
	v_pk_add_f32 v[2:3], v[24:25], v[16:17]
	v_pk_add_f32 v[6:7], v[18:19], v[26:27] neg_lo:[0,1] neg_hi:[0,1]
	v_pk_fma_f32 v[2:3], v[2:3], 0.5, v[0:1] op_sel_hi:[1,0,1] neg_lo:[1,0,0] neg_hi:[1,0,0]
	v_pk_mul_f32 v[10:11], v[6:7], s[2:3] op_sel_hi:[1,0]
	v_pk_add_f32 v[12:13], v[24:25], v[16:17] neg_lo:[0,1] neg_hi:[0,1]
	v_pk_add_f32 v[20:21], v[18:19], v[24:25] neg_lo:[0,1] neg_hi:[0,1]
	;; [unrolled: 1-line block ×3, first 2 shown]
	v_pk_add_f32 v[4:5], v[0:1], v[18:19]
	v_pk_mul_f32 v[14:15], v[12:13], s[6:7] op_sel_hi:[1,0]
	v_pk_add_f32 v[20:21], v[20:21], v[22:23]
	v_pk_add_f32 v[22:23], v[2:3], v[10:11] op_sel:[0,1] op_sel_hi:[1,0]
	v_pk_add_f32 v[2:3], v[2:3], v[10:11] op_sel:[0,1] op_sel_hi:[1,0] neg_lo:[0,1] neg_hi:[0,1]
	v_pk_add_f32 v[4:5], v[4:5], v[24:25]
	v_pk_add_f32 v[2:3], v[2:3], v[14:15] op_sel:[0,1] op_sel_hi:[1,0] neg_lo:[0,1] neg_hi:[0,1]
	v_pk_add_f32 v[10:11], v[22:23], v[14:15] op_sel:[0,1] op_sel_hi:[1,0]
	v_pk_add_f32 v[4:5], v[4:5], v[16:17]
	v_mov_b32_e32 v14, v10
	v_mov_b32_e32 v15, v3
	v_pk_add_f32 v[4:5], v[4:5], v[26:27]
	v_pk_fma_f32 v[14:15], v[20:21], s[0:1], v[14:15] op_sel_hi:[1,0,1]
	ds_write2_b64 v30, v[4:5], v[14:15] offset0:110 offset1:121
	v_pk_add_f32 v[4:5], v[18:19], v[26:27]
	v_pk_add_f32 v[14:15], v[16:17], v[26:27] neg_lo:[0,1] neg_hi:[0,1]
	v_pk_fma_f32 v[0:1], v[4:5], 0.5, v[0:1] op_sel_hi:[1,0,1] neg_lo:[1,0,0] neg_hi:[1,0,0]
	v_pk_add_f32 v[4:5], v[24:25], v[18:19] neg_lo:[0,1] neg_hi:[0,1]
	v_pk_mul_f32 v[12:13], v[12:13], s[2:3] op_sel_hi:[1,0]
	v_pk_add_f32 v[4:5], v[4:5], v[14:15]
	v_pk_mul_f32 v[6:7], v[6:7], s[6:7] op_sel_hi:[1,0]
	v_pk_add_f32 v[14:15], v[0:1], v[12:13] op_sel:[0,1] op_sel_hi:[1,0] neg_lo:[0,1] neg_hi:[0,1]
	v_pk_add_f32 v[0:1], v[0:1], v[12:13] op_sel:[0,1] op_sel_hi:[1,0]
	v_mov_b32_e32 v3, v11
	v_pk_add_f32 v[0:1], v[0:1], v[6:7] op_sel:[0,1] op_sel_hi:[1,0] neg_lo:[0,1] neg_hi:[0,1]
	v_pk_add_f32 v[6:7], v[14:15], v[6:7] op_sel:[0,1] op_sel_hi:[1,0]
	v_mov_b32_e32 v13, v1
	v_mov_b32_e32 v12, v6
	;; [unrolled: 1-line block ×3, first 2 shown]
	v_pk_fma_f32 v[12:13], v[4:5], s[0:1], v[12:13] op_sel_hi:[1,0,1]
	v_pk_fma_f32 v[0:1], v[4:5], s[0:1], v[0:1] op_sel_hi:[1,0,1]
	ds_write2_b64 v30, v[12:13], v[0:1] offset0:132 offset1:143
	v_pk_fma_f32 v[0:1], v[20:21], s[0:1], v[2:3] op_sel_hi:[1,0,1]
	v_lshlrev_b32_e32 v8, 1, v40
	ds_write_b64 v30, v[0:1] offset:1232
	v_lshl_add_u64 v[0:1], v[8:9], 3, s[4:5]
	s_waitcnt lgkmcnt(0)
	; wave barrier
	s_waitcnt lgkmcnt(0)
	global_load_dwordx4 v[0:3], v[0:1], off offset:352
	v_lshlrev_b32_e32 v4, 1, v72
	v_mov_b32_e32 v5, v9
	v_lshl_add_u64 v[4:5], v[4:5], 3, s[4:5]
	global_load_dwordx4 v[4:7], v[4:5], off offset:352
	v_add_u32_e32 v10, 0x42, v8
	v_mov_b32_e32 v11, v9
	v_lshl_add_u64 v[10:11], v[10:11], 3, s[4:5]
	global_load_dwordx4 v[10:13], v[10:11], off offset:352
	v_add_u32_e32 v8, 0x58, v8
	v_lshl_add_u64 v[14:15], v[8:9], 3, s[4:5]
	global_load_dwordx4 v[14:17], v[14:15], off offset:352
	v_lshlrev_b32_e32 v18, 1, v85
	v_mov_b32_e32 v19, v9
	v_lshl_add_u64 v[18:19], v[18:19], 3, s[4:5]
	global_load_dwordx4 v[18:21], v[18:19], off offset:352
	ds_read2_b64 v[22:25], v41 offset0:44 offset1:55
	ds_read2_b64 v[26:29], v41 offset0:110 offset1:121
	ds_read2_b32 v[30:31], v41 offset0:154 offset1:155
	ds_read_b64 v[34:35], v41 offset:1232
	ds_read_b64 v[36:37], v41 offset:528
	ds_read_b64 v[38:39], v84
	s_mov_b32 s0, 0x3f5db3d7
	s_waitcnt lgkmcnt(3)
	v_mov_b32_e32 v8, v31
	s_waitcnt vmcnt(4)
	v_pk_mul_f32 v[32:33], v[0:1], v[24:25] op_sel:[0,1]
	s_nop 0
	v_pk_fma_f32 v[44:45], v[0:1], v[24:25], v[32:33] op_sel:[0,0,1] op_sel_hi:[1,1,0] neg_lo:[0,0,1] neg_hi:[0,0,1]
	v_pk_fma_f32 v[0:1], v[0:1], v[24:25], v[32:33] op_sel:[0,0,1] op_sel_hi:[1,0,0]
	s_waitcnt vmcnt(3)
	v_pk_mul_f32 v[32:33], v[8:9], v[4:5] op_sel_hi:[0,1]
	v_mov_b32_e32 v45, v1
	v_pk_mul_f32 v[0:1], v[2:3], v[26:27] op_sel:[0,1]
	v_pk_fma_f32 v[50:51], v[4:5], v[30:31], v[32:33] op_sel:[0,0,1] op_sel_hi:[1,1,0] neg_lo:[0,0,1] neg_hi:[0,0,1]
	v_pk_fma_f32 v[46:47], v[2:3], v[26:27], v[0:1] op_sel:[0,0,1] op_sel_hi:[1,1,0] neg_lo:[0,0,1] neg_hi:[0,0,1]
	v_pk_fma_f32 v[0:1], v[2:3], v[26:27], v[0:1] op_sel:[0,0,1] op_sel_hi:[1,0,0]
	v_pk_fma_f32 v[4:5], v[4:5], v[30:31], v[32:33] op_sel:[0,0,1] op_sel_hi:[1,0,0]
	v_mov_b32_e32 v47, v1
	s_waitcnt lgkmcnt(0)
	v_pk_add_f32 v[0:1], v[38:39], v[44:45]
	v_mov_b32_e32 v4, v7
	v_pk_add_f32 v[48:49], v[0:1], v[46:47]
	ds_read2_b64 v[0:3], v41 offset0:22 offset1:33
	ds_read2_b64 v[24:27], v41 offset0:132 offset1:143
	ds_read2_b64 v[30:33], v41 offset0:88 offset1:99
	v_mov_b32_e32 v51, v5
	s_waitcnt vmcnt(1)
	v_mov_b32_e32 v8, v17
	s_waitcnt lgkmcnt(1)
	v_pk_mul_f32 v[4:5], v[24:25], v[4:5] op_sel_hi:[1,0]
	s_nop 0
	v_pk_fma_f32 v[52:53], v[24:25], v[6:7], v[4:5] op_sel:[0,0,1] op_sel_hi:[1,1,0] neg_lo:[0,0,1] neg_hi:[0,0,1]
	v_pk_fma_f32 v[4:5], v[24:25], v[6:7], v[4:5] op_sel:[0,0,1] op_sel_hi:[1,0,0]
	s_waitcnt lgkmcnt(0)
	v_pk_mul_f32 v[6:7], v[30:31], v[10:11] op_sel:[0,1]
	v_mov_b32_e32 v53, v5
	v_pk_fma_f32 v[24:25], v[30:31], v[10:11], v[6:7] op_sel:[0,0,1] op_sel_hi:[1,1,0] neg_lo:[0,0,1] neg_hi:[0,0,1]
	v_pk_fma_f32 v[6:7], v[30:31], v[10:11], v[6:7] op_sel:[0,0,1] op_sel_hi:[1,0,0]
	v_pk_add_f32 v[30:31], v[44:45], v[46:47] neg_lo:[0,1] neg_hi:[0,1]
	v_mov_b32_e32 v6, v13
	v_mov_b32_e32 v25, v7
	v_pk_mul_f32 v[6:7], v[26:27], v[6:7] op_sel_hi:[1,0]
	v_pk_mul_f32 v[30:31], v[30:31], s[0:1] op_sel_hi:[1,0]
	v_pk_fma_f32 v[10:11], v[26:27], v[12:13], v[6:7] op_sel:[0,0,1] op_sel_hi:[1,1,0] neg_lo:[0,0,1] neg_hi:[0,0,1]
	v_pk_fma_f32 v[6:7], v[26:27], v[12:13], v[6:7] op_sel:[0,0,1] op_sel_hi:[1,0,0]
	v_pk_mul_f32 v[12:13], v[32:33], v[14:15] op_sel:[0,1]
	v_pk_add_f32 v[4:5], v[0:1], v[50:51]
	v_pk_fma_f32 v[26:27], v[32:33], v[14:15], v[12:13] op_sel:[0,0,1] op_sel_hi:[1,1,0] neg_lo:[0,0,1] neg_hi:[0,0,1]
	v_pk_fma_f32 v[12:13], v[32:33], v[14:15], v[12:13] op_sel:[0,0,1] op_sel_hi:[1,0,0]
	v_mov_b32_e32 v11, v7
	v_mov_b32_e32 v27, v13
	v_pk_mul_f32 v[12:13], v[34:35], v[8:9] op_sel_hi:[1,0]
	v_pk_add_f32 v[6:7], v[2:3], v[24:25]
	v_pk_fma_f32 v[14:15], v[34:35], v[16:17], v[12:13] op_sel:[0,0,1] op_sel_hi:[1,1,0] neg_lo:[0,0,1] neg_hi:[0,0,1]
	v_pk_fma_f32 v[12:13], v[34:35], v[16:17], v[12:13] op_sel:[0,0,1] op_sel_hi:[1,0,0]
	v_pk_add_f32 v[16:17], v[44:45], v[46:47]
	s_waitcnt vmcnt(0)
	v_pk_mul_f32 v[34:35], v[18:19], v[36:37] op_sel:[0,1]
	v_pk_fma_f32 v[16:17], v[16:17], 0.5, v[38:39] op_sel_hi:[1,0,1] neg_lo:[1,0,0] neg_hi:[1,0,0]
	v_pk_fma_f32 v[38:39], v[18:19], v[36:37], v[34:35] op_sel:[0,0,1] op_sel_hi:[1,1,0] neg_lo:[0,0,1] neg_hi:[0,0,1]
	v_pk_add_f32 v[32:33], v[16:17], v[30:31] op_sel:[0,1] op_sel_hi:[1,0]
	v_pk_add_f32 v[16:17], v[16:17], v[30:31] op_sel:[0,1] op_sel_hi:[1,0] neg_lo:[0,1] neg_hi:[0,1]
	ds_read_b64 v[30:31], v73
	v_pk_fma_f32 v[18:19], v[18:19], v[36:37], v[34:35] op_sel:[0,0,1] op_sel_hi:[1,0,0]
	s_waitcnt lgkmcnt(0)
	v_mov_b32_e32 v39, v19
	v_pk_mul_f32 v[18:19], v[20:21], v[28:29] op_sel:[0,1]
	; wave barrier
	s_nop 0
	v_pk_fma_f32 v[34:35], v[20:21], v[28:29], v[18:19] op_sel:[0,0,1] op_sel_hi:[1,1,0] neg_lo:[0,0,1] neg_hi:[0,0,1]
	v_pk_fma_f32 v[18:19], v[20:21], v[28:29], v[18:19] op_sel:[0,0,1] op_sel_hi:[1,0,0]
	v_mov_b32_e32 v20, v32
	v_mov_b32_e32 v35, v19
	;; [unrolled: 1-line block ×4, first 2 shown]
	ds_write_b64 v41, v[20:21] offset:440
	ds_write_b64 v41, v[16:17] offset:880
	v_pk_add_f32 v[16:17], v[38:39], v[34:35]
	v_pk_add_f32 v[20:21], v[38:39], v[34:35] neg_lo:[0,1] neg_hi:[0,1]
	v_pk_fma_f32 v[16:17], v[16:17], 0.5, v[30:31] op_sel_hi:[1,0,1] neg_lo:[1,0,0] neg_hi:[1,0,0]
	v_pk_mul_f32 v[20:21], v[20:21], s[0:1] op_sel_hi:[1,0]
	v_pk_add_f32 v[18:19], v[30:31], v[38:39]
	v_pk_add_f32 v[28:29], v[16:17], v[20:21] op_sel:[0,1] op_sel_hi:[1,0]
	v_pk_add_f32 v[16:17], v[16:17], v[20:21] op_sel:[0,1] op_sel_hi:[1,0] neg_lo:[0,1] neg_hi:[0,1]
	v_pk_add_f32 v[4:5], v[4:5], v[52:53]
	v_pk_add_f32 v[6:7], v[6:7], v[10:11]
	;; [unrolled: 1-line block ×3, first 2 shown]
	v_mov_b32_e32 v20, v28
	v_mov_b32_e32 v21, v17
	;; [unrolled: 1-line block ×3, first 2 shown]
	ds_write_b64 v41, v[48:49]
	ds_write2_b64 v73, v[18:19], v[20:21] offset1:55
	ds_write_b64 v73, v[16:17] offset:880
	v_pk_add_f32 v[16:17], v[50:51], v[52:53]
	ds_write2_b64 v41, v[4:5], v[6:7] offset0:22 offset1:33
	v_pk_add_f32 v[4:5], v[24:25], v[10:11]
	v_pk_fma_f32 v[0:1], v[16:17], 0.5, v[0:1] op_sel_hi:[1,0,1] neg_lo:[1,0,0] neg_hi:[1,0,0]
	v_pk_add_f32 v[16:17], v[50:51], v[52:53] neg_lo:[0,1] neg_hi:[0,1]
	v_pk_fma_f32 v[2:3], v[4:5], 0.5, v[2:3] op_sel_hi:[1,0,1] neg_lo:[1,0,0] neg_hi:[1,0,0]
	v_pk_add_f32 v[4:5], v[24:25], v[10:11] neg_lo:[0,1] neg_hi:[0,1]
	v_pk_mul_f32 v[16:17], v[16:17], s[0:1] op_sel_hi:[1,0]
	v_pk_mul_f32 v[4:5], v[4:5], s[0:1] op_sel_hi:[1,0]
	v_pk_add_f32 v[18:19], v[0:1], v[16:17] op_sel:[0,1] op_sel_hi:[1,0]
	v_pk_add_f32 v[0:1], v[0:1], v[16:17] op_sel:[0,1] op_sel_hi:[1,0] neg_lo:[0,1] neg_hi:[0,1]
	v_pk_add_f32 v[6:7], v[2:3], v[4:5] op_sel:[0,1] op_sel_hi:[1,0]
	v_pk_add_f32 v[2:3], v[2:3], v[4:5] op_sel:[0,1] op_sel_hi:[1,0] neg_lo:[0,1] neg_hi:[0,1]
	v_mov_b32_e32 v15, v13
	v_pk_add_f32 v[12:13], v[22:23], v[26:27]
	v_mov_b32_e32 v16, v18
	v_mov_b32_e32 v17, v1
	;; [unrolled: 1-line block ×6, first 2 shown]
	v_pk_add_f32 v[12:13], v[12:13], v[14:15]
	ds_write2_b64 v41, v[16:17], v[4:5] offset0:77 offset1:88
	ds_write2_b64 v41, v[0:1], v[2:3] offset0:132 offset1:143
	ds_write_b64 v41, v[12:13] offset:352
	v_pk_add_f32 v[0:1], v[26:27], v[14:15]
	v_pk_add_f32 v[2:3], v[26:27], v[14:15] neg_lo:[0,1] neg_hi:[0,1]
	v_pk_fma_f32 v[0:1], v[0:1], 0.5, v[22:23] op_sel_hi:[1,0,1] neg_lo:[1,0,0] neg_hi:[1,0,0]
	v_pk_mul_f32 v[2:3], v[2:3], s[0:1] op_sel_hi:[1,0]
	s_nop 0
	v_pk_add_f32 v[4:5], v[0:1], v[2:3] op_sel:[0,1] op_sel_hi:[1,0]
	v_pk_add_f32 v[0:1], v[0:1], v[2:3] op_sel:[0,1] op_sel_hi:[1,0] neg_lo:[0,1] neg_hi:[0,1]
	v_mov_b32_e32 v2, v4
	v_mov_b32_e32 v3, v1
	;; [unrolled: 1-line block ×3, first 2 shown]
	ds_write_b64 v41, v[2:3] offset:792
	ds_write_b64 v41, v[0:1] offset:1232
	s_waitcnt lgkmcnt(0)
	; wave barrier
	s_waitcnt lgkmcnt(0)
	s_and_saveexec_b64 s[0:1], vcc
	s_cbranch_execz .LBB0_16
; %bb.15:
	ds_read2_b64 v[0:3], v84 offset1:11
	v_mov_b32_e32 v41, v9
	ds_read2_b64 v[4:7], v84 offset0:22 offset1:33
	ds_read2_b64 v[8:11], v84 offset0:44 offset1:55
	v_lshl_add_u64 v[12:13], v[40:41], 3, v[42:43]
	s_waitcnt lgkmcnt(2)
	global_store_dwordx2 v[12:13], v[0:1], off
	global_store_dwordx2 v[12:13], v[2:3], off offset:88
	s_waitcnt lgkmcnt(1)
	global_store_dwordx2 v[12:13], v[4:5], off offset:176
	ds_read2_b64 v[0:3], v84 offset0:66 offset1:77
	global_store_dwordx2 v[12:13], v[6:7], off offset:264
	s_waitcnt lgkmcnt(1)
	global_store_dwordx2 v[12:13], v[8:9], off offset:352
	ds_read2_b64 v[4:7], v84 offset0:88 offset1:99
	global_store_dwordx2 v[12:13], v[10:11], off offset:440
	s_waitcnt lgkmcnt(1)
	global_store_dwordx2 v[12:13], v[0:1], off offset:528
	global_store_dwordx2 v[12:13], v[2:3], off offset:616
	ds_read2_b64 v[0:3], v84 offset0:110 offset1:121
	ds_read2_b64 v[8:11], v84 offset0:132 offset1:143
	s_waitcnt lgkmcnt(2)
	global_store_dwordx2 v[12:13], v[4:5], off offset:704
	ds_read_b64 v[4:5], v84 offset:1232
	global_store_dwordx2 v[12:13], v[6:7], off offset:792
	s_waitcnt lgkmcnt(2)
	global_store_dwordx2 v[12:13], v[0:1], off offset:880
	global_store_dwordx2 v[12:13], v[2:3], off offset:968
	s_waitcnt lgkmcnt(1)
	global_store_dwordx2 v[12:13], v[8:9], off offset:1056
	;; [unrolled: 3-line block ×3, first 2 shown]
.LBB0_16:
	s_endpgm
	.section	.rodata,"a",@progbits
	.p2align	6, 0x0
	.amdhsa_kernel fft_rtc_fwd_len165_factors_11_5_3_wgs_55_tpt_11_sp_ip_CI_unitstride_sbrr_dirReg
		.amdhsa_group_segment_fixed_size 0
		.amdhsa_private_segment_fixed_size 0
		.amdhsa_kernarg_size 88
		.amdhsa_user_sgpr_count 2
		.amdhsa_user_sgpr_dispatch_ptr 0
		.amdhsa_user_sgpr_queue_ptr 0
		.amdhsa_user_sgpr_kernarg_segment_ptr 1
		.amdhsa_user_sgpr_dispatch_id 0
		.amdhsa_user_sgpr_kernarg_preload_length 0
		.amdhsa_user_sgpr_kernarg_preload_offset 0
		.amdhsa_user_sgpr_private_segment_size 0
		.amdhsa_uses_dynamic_stack 0
		.amdhsa_enable_private_segment 0
		.amdhsa_system_sgpr_workgroup_id_x 1
		.amdhsa_system_sgpr_workgroup_id_y 0
		.amdhsa_system_sgpr_workgroup_id_z 0
		.amdhsa_system_sgpr_workgroup_info 0
		.amdhsa_system_vgpr_workitem_id 0
		.amdhsa_next_free_vgpr 148
		.amdhsa_next_free_sgpr 44
		.amdhsa_accum_offset 148
		.amdhsa_reserve_vcc 1
		.amdhsa_float_round_mode_32 0
		.amdhsa_float_round_mode_16_64 0
		.amdhsa_float_denorm_mode_32 3
		.amdhsa_float_denorm_mode_16_64 3
		.amdhsa_dx10_clamp 1
		.amdhsa_ieee_mode 1
		.amdhsa_fp16_overflow 0
		.amdhsa_tg_split 0
		.amdhsa_exception_fp_ieee_invalid_op 0
		.amdhsa_exception_fp_denorm_src 0
		.amdhsa_exception_fp_ieee_div_zero 0
		.amdhsa_exception_fp_ieee_overflow 0
		.amdhsa_exception_fp_ieee_underflow 0
		.amdhsa_exception_fp_ieee_inexact 0
		.amdhsa_exception_int_div_zero 0
	.end_amdhsa_kernel
	.text
.Lfunc_end0:
	.size	fft_rtc_fwd_len165_factors_11_5_3_wgs_55_tpt_11_sp_ip_CI_unitstride_sbrr_dirReg, .Lfunc_end0-fft_rtc_fwd_len165_factors_11_5_3_wgs_55_tpt_11_sp_ip_CI_unitstride_sbrr_dirReg
                                        ; -- End function
	.section	.AMDGPU.csdata,"",@progbits
; Kernel info:
; codeLenInByte = 8052
; NumSgprs: 50
; NumVgprs: 148
; NumAgprs: 0
; TotalNumVgprs: 148
; ScratchSize: 0
; MemoryBound: 0
; FloatMode: 240
; IeeeMode: 1
; LDSByteSize: 0 bytes/workgroup (compile time only)
; SGPRBlocks: 6
; VGPRBlocks: 18
; NumSGPRsForWavesPerEU: 50
; NumVGPRsForWavesPerEU: 148
; AccumOffset: 148
; Occupancy: 3
; WaveLimiterHint : 1
; COMPUTE_PGM_RSRC2:SCRATCH_EN: 0
; COMPUTE_PGM_RSRC2:USER_SGPR: 2
; COMPUTE_PGM_RSRC2:TRAP_HANDLER: 0
; COMPUTE_PGM_RSRC2:TGID_X_EN: 1
; COMPUTE_PGM_RSRC2:TGID_Y_EN: 0
; COMPUTE_PGM_RSRC2:TGID_Z_EN: 0
; COMPUTE_PGM_RSRC2:TIDIG_COMP_CNT: 0
; COMPUTE_PGM_RSRC3_GFX90A:ACCUM_OFFSET: 36
; COMPUTE_PGM_RSRC3_GFX90A:TG_SPLIT: 0
	.text
	.p2alignl 6, 3212836864
	.fill 256, 4, 3212836864
	.type	__hip_cuid_db7471d2f66fce82,@object ; @__hip_cuid_db7471d2f66fce82
	.section	.bss,"aw",@nobits
	.globl	__hip_cuid_db7471d2f66fce82
__hip_cuid_db7471d2f66fce82:
	.byte	0                               ; 0x0
	.size	__hip_cuid_db7471d2f66fce82, 1

	.ident	"AMD clang version 19.0.0git (https://github.com/RadeonOpenCompute/llvm-project roc-6.4.0 25133 c7fe45cf4b819c5991fe208aaa96edf142730f1d)"
	.section	".note.GNU-stack","",@progbits
	.addrsig
	.addrsig_sym __hip_cuid_db7471d2f66fce82
	.amdgpu_metadata
---
amdhsa.kernels:
  - .agpr_count:     0
    .args:
      - .actual_access:  read_only
        .address_space:  global
        .offset:         0
        .size:           8
        .value_kind:     global_buffer
      - .offset:         8
        .size:           8
        .value_kind:     by_value
      - .actual_access:  read_only
        .address_space:  global
        .offset:         16
        .size:           8
        .value_kind:     global_buffer
      - .actual_access:  read_only
        .address_space:  global
        .offset:         24
        .size:           8
        .value_kind:     global_buffer
      - .offset:         32
        .size:           8
        .value_kind:     by_value
      - .actual_access:  read_only
        .address_space:  global
        .offset:         40
        .size:           8
        .value_kind:     global_buffer
      - .actual_access:  read_only
        .address_space:  global
        .offset:         48
        .size:           8
        .value_kind:     global_buffer
      - .offset:         56
        .size:           4
        .value_kind:     by_value
      - .actual_access:  read_only
        .address_space:  global
        .offset:         64
        .size:           8
        .value_kind:     global_buffer
      - .actual_access:  read_only
        .address_space:  global
        .offset:         72
        .size:           8
        .value_kind:     global_buffer
      - .address_space:  global
        .offset:         80
        .size:           8
        .value_kind:     global_buffer
    .group_segment_fixed_size: 0
    .kernarg_segment_align: 8
    .kernarg_segment_size: 88
    .language:       OpenCL C
    .language_version:
      - 2
      - 0
    .max_flat_workgroup_size: 55
    .name:           fft_rtc_fwd_len165_factors_11_5_3_wgs_55_tpt_11_sp_ip_CI_unitstride_sbrr_dirReg
    .private_segment_fixed_size: 0
    .sgpr_count:     50
    .sgpr_spill_count: 0
    .symbol:         fft_rtc_fwd_len165_factors_11_5_3_wgs_55_tpt_11_sp_ip_CI_unitstride_sbrr_dirReg.kd
    .uniform_work_group_size: 1
    .uses_dynamic_stack: false
    .vgpr_count:     148
    .vgpr_spill_count: 0
    .wavefront_size: 64
amdhsa.target:   amdgcn-amd-amdhsa--gfx950
amdhsa.version:
  - 1
  - 2
...

	.end_amdgpu_metadata
